;; amdgpu-corpus repo=ROCm/rocFFT kind=compiled arch=gfx950 opt=O3
	.text
	.amdgcn_target "amdgcn-amd-amdhsa--gfx950"
	.amdhsa_code_object_version 6
	.protected	fft_rtc_back_len56_factors_4_7_2_wgs_128_tpt_8_dim2_dp_op_CI_CI_unitstride_sbrr_dirReg ; -- Begin function fft_rtc_back_len56_factors_4_7_2_wgs_128_tpt_8_dim2_dp_op_CI_CI_unitstride_sbrr_dirReg
	.globl	fft_rtc_back_len56_factors_4_7_2_wgs_128_tpt_8_dim2_dp_op_CI_CI_unitstride_sbrr_dirReg
	.p2align	8
	.type	fft_rtc_back_len56_factors_4_7_2_wgs_128_tpt_8_dim2_dp_op_CI_CI_unitstride_sbrr_dirReg,@function
fft_rtc_back_len56_factors_4_7_2_wgs_128_tpt_8_dim2_dp_op_CI_CI_unitstride_sbrr_dirReg: ; @fft_rtc_back_len56_factors_4_7_2_wgs_128_tpt_8_dim2_dp_op_CI_CI_unitstride_sbrr_dirReg
; %bb.0:
	s_load_dwordx2 s[4:5], s[0:1], 0x8
	s_load_dwordx2 s[12:13], s[0:1], 0x18
	v_lshrrev_b32_e32 v39, 3, v0
	v_mov_b32_e32 v3, 0
	v_lshl_or_b32 v2, s2, 4, v39
	s_waitcnt lgkmcnt(0)
	s_load_dwordx2 s[4:5], s[4:5], 0x8
	v_mov_b64_e32 v[36:37], 0
	s_waitcnt lgkmcnt(0)
	v_cmp_le_u64_e32 vcc, s[4:5], v[2:3]
	s_and_saveexec_b64 s[2:3], vcc
	s_cbranch_execz .LBB0_2
; %bb.1:
	v_cvt_f32_u32_e32 v1, s4
	s_sub_i32 s6, 0, s4
	v_mov_b32_e32 v37, v3
	v_rcp_iflag_f32_e32 v1, v1
	s_nop 0
	v_mul_f32_e32 v1, 0x4f7ffffe, v1
	v_cvt_u32_f32_e32 v1, v1
	v_mul_lo_u32 v4, s6, v1
	v_mul_hi_u32 v4, v1, v4
	v_add_u32_e32 v1, v1, v4
	v_mul_hi_u32 v1, v2, v1
	v_mul_lo_u32 v4, v1, s4
	v_sub_u32_e32 v4, v2, v4
	v_add_u32_e32 v5, 1, v1
	v_subrev_u32_e32 v6, s4, v4
	v_cmp_le_u32_e32 vcc, s4, v4
	s_nop 1
	v_cndmask_b32_e32 v4, v4, v6, vcc
	v_cndmask_b32_e32 v1, v1, v5, vcc
	v_add_u32_e32 v5, 1, v1
	v_cmp_le_u32_e32 vcc, s4, v4
	s_nop 1
	v_cndmask_b32_e32 v36, v1, v5, vcc
.LBB0_2:
	s_or_b64 exec, exec, s[2:3]
	s_load_dwordx2 s[2:3], s[0:1], 0x20
	v_mad_u64_u32 v[4:5], s[6:7], v36, s4, 0
	v_mov_b32_e32 v6, v5
	v_mad_u64_u32 v[6:7], s[4:5], v36, s5, v[6:7]
	v_mov_b32_e32 v3, v6
	v_sub_co_u32_e32 v1, vcc, v2, v4
	v_and_b32_e32 v40, 7, v0
	s_nop 0
	v_subb_co_u32_e32 v41, vcc, 0, v3, vcc
	s_waitcnt lgkmcnt(0)
	v_cmp_gt_u64_e32 vcc, s[2:3], v[36:37]
	v_cmp_le_u64_e64 s[2:3], s[2:3], v[36:37]
                                        ; implicit-def: $vgpr34
                                        ; implicit-def: $vgpr38
	s_and_saveexec_b64 s[4:5], s[2:3]
	s_xor_b64 s[2:3], exec, s[4:5]
; %bb.3:
	v_and_b32_e32 v34, 7, v0
	v_or_b32_e32 v38, 8, v34
                                        ; implicit-def: $vgpr40
; %bb.4:
	s_or_saveexec_b64 s[10:11], s[2:3]
	s_load_dwordx2 s[8:9], s[0:1], 0x0
	s_load_dwordx4 s[4:7], s[12:13], 0x8
                                        ; implicit-def: $vgpr4_vgpr5
                                        ; implicit-def: $vgpr20_vgpr21
                                        ; implicit-def: $vgpr12_vgpr13
                                        ; implicit-def: $vgpr28_vgpr29
                                        ; implicit-def: $vgpr32_vgpr33
                                        ; implicit-def: $vgpr8_vgpr9
                                        ; implicit-def: $vgpr24_vgpr25
                                        ; implicit-def: $vgpr16_vgpr17
	s_xor_b64 exec, exec, s[10:11]
	s_cbranch_execz .LBB0_8
; %bb.5:
	s_load_dwordx2 s[2:3], s[0:1], 0x10
	v_or_b32_e32 v38, 8, v40
                                        ; implicit-def: $vgpr30_vgpr31
                                        ; implicit-def: $vgpr26_vgpr27
                                        ; implicit-def: $vgpr10_vgpr11
	s_waitcnt lgkmcnt(0)
	s_load_dwordx4 s[12:15], s[2:3], 0x8
	s_load_dwordx2 s[16:17], s[0:1], 0x50
	s_waitcnt lgkmcnt(0)
	v_mad_u64_u32 v[2:3], s[2:3], s14, v36, 0
	v_mul_lo_u32 v7, s13, v1
	v_mul_lo_u32 v8, s12, v41
	v_mad_u64_u32 v[4:5], s[2:3], s12, v1, 0
	v_mov_b32_e32 v6, v3
	v_add3_u32 v5, v5, v8, v7
	v_mad_u64_u32 v[6:7], s[2:3], s15, v36, v[6:7]
	v_mov_b32_e32 v3, v6
	v_lshl_add_u64 v[2:3], v[2:3], 4, s[16:17]
	v_lshl_add_u64 v[2:3], v[4:5], 4, v[2:3]
	v_lshlrev_b32_e32 v4, 4, v40
	v_mov_b32_e32 v5, 0
	v_lshl_add_u64 v[34:35], v[2:3], 0, v[4:5]
	global_load_dwordx4 v[14:17], v[34:35], off
	global_load_dwordx4 v[2:5], v[34:35], off offset:224
	global_load_dwordx4 v[18:21], v[34:35], off offset:448
	global_load_dwordx4 v[22:25], v[34:35], off offset:672
	v_cmp_gt_u32_e64 s[2:3], 14, v38
                                        ; implicit-def: $vgpr6_vgpr7
	s_and_saveexec_b64 s[12:13], s[2:3]
	s_cbranch_execz .LBB0_7
; %bb.6:
	global_load_dwordx4 v[6:9], v[34:35], off offset:128
	global_load_dwordx4 v[10:13], v[34:35], off offset:352
	;; [unrolled: 1-line block ×4, first 2 shown]
.LBB0_7:
	s_or_b64 exec, exec, s[12:13]
	v_mov_b32_e32 v34, v40
.LBB0_8:
	s_or_b64 exec, exec, s[10:11]
	s_waitcnt vmcnt(1)
	v_add_f64 v[18:19], v[14:15], -v[18:19]
	v_add_f64 v[20:21], v[16:17], -v[20:21]
	s_waitcnt vmcnt(0)
	v_add_f64 v[22:23], v[2:3], -v[22:23]
	v_add_f64 v[24:25], v[4:5], -v[24:25]
	v_fma_f64 v[14:15], v[14:15], 2.0, -v[18:19]
	v_fma_f64 v[16:17], v[16:17], 2.0, -v[20:21]
	v_fma_f64 v[2:3], v[2:3], 2.0, -v[22:23]
	v_fma_f64 v[4:5], v[4:5], 2.0, -v[24:25]
	v_mul_u32_u24_e32 v35, 56, v39
	v_add_f64 v[42:43], v[14:15], -v[2:3]
	v_add_f64 v[44:45], v[16:17], -v[4:5]
	v_add_f64 v[50:51], v[24:25], v[18:19]
	v_add_f64 v[52:53], v[20:21], -v[22:23]
	v_lshl_add_u32 v22, v34, 6, 0
	v_fma_f64 v[46:47], v[14:15], 2.0, -v[42:43]
	v_fma_f64 v[48:49], v[16:17], 2.0, -v[44:45]
	;; [unrolled: 1-line block ×4, first 2 shown]
	v_add_f64 v[14:15], v[6:7], -v[26:27]
	v_add_f64 v[18:19], v[8:9], -v[28:29]
	;; [unrolled: 1-line block ×4, first 2 shown]
	v_lshl_add_u32 v23, v35, 4, v22
	v_add_f64 v[2:3], v[20:21], v[14:15]
	v_add_f64 v[4:5], v[18:19], -v[16:17]
	ds_write_b128 v23, v[46:49]
	ds_write_b128 v23, v[54:57] offset:16
	ds_write_b128 v23, v[42:45] offset:32
	;; [unrolled: 1-line block ×3, first 2 shown]
	v_cmp_gt_u32_e64 s[2:3], 6, v34
	v_lshlrev_b32_e32 v23, 4, v35
	s_and_saveexec_b64 s[10:11], s[2:3]
	s_cbranch_execz .LBB0_10
; %bb.9:
	v_fma_f64 v[24:25], v[14:15], 2.0, -v[2:3]
	v_fma_f64 v[14:15], v[6:7], 2.0, -v[14:15]
	;; [unrolled: 1-line block ×6, first 2 shown]
	v_add_f64 v[6:7], v[14:15], -v[6:7]
	v_add_f64 v[8:9], v[18:19], -v[8:9]
	v_fma_f64 v[10:11], v[14:15], 2.0, -v[6:7]
	v_lshlrev_b32_e32 v14, 6, v38
	v_fma_f64 v[12:13], v[18:19], 2.0, -v[8:9]
	v_add3_u32 v14, 0, v14, v23
	ds_write_b128 v14, v[10:13]
	ds_write_b128 v14, v[24:27] offset:16
	ds_write_b128 v14, v[6:9] offset:32
	;; [unrolled: 1-line block ×3, first 2 shown]
.LBB0_10:
	s_or_b64 exec, exec, s[10:11]
	v_and_b32_e32 v35, 3, v0
	v_mul_u32_u24_e32 v0, 6, v35
	v_lshlrev_b32_e32 v0, 4, v0
	s_waitcnt lgkmcnt(0)
	s_barrier
	global_load_dwordx4 v[6:9], v0, s[8:9]
	global_load_dwordx4 v[10:13], v0, s[8:9] offset:16
	global_load_dwordx4 v[14:17], v0, s[8:9] offset:32
	;; [unrolled: 1-line block ×5, first 2 shown]
	v_add_u32_e32 v37, 0, v23
	v_mul_i32_i24_e32 v0, 0xffffffd0, v34
	v_lshl_add_u32 v62, v38, 4, v37
	v_add3_u32 v0, v22, v0, v23
	ds_read_b128 v[42:45], v62
	ds_read_b128 v[46:49], v0 offset:256
	ds_read_b128 v[50:53], v0 offset:384
	;; [unrolled: 1-line block ×4, first 2 shown]
	v_lshl_add_u32 v39, v34, 4, v37
	s_mov_b32 s10, 0x37e14327
	s_mov_b32 s11, 0x3fe948f6
	;; [unrolled: 1-line block ×6, first 2 shown]
	s_waitcnt vmcnt(5) lgkmcnt(4)
	v_mul_f64 v[22:23], v[44:45], v[8:9]
	v_mul_f64 v[8:9], v[42:43], v[8:9]
	s_waitcnt vmcnt(4) lgkmcnt(3)
	v_mul_f64 v[32:33], v[48:49], v[12:13]
	v_fmac_f64_e32 v[22:23], v[42:43], v[6:7]
	v_fma_f64 v[42:43], v[44:45], v[6:7], -v[8:9]
	v_mul_f64 v[6:7], v[46:47], v[12:13]
	v_fmac_f64_e32 v[32:33], v[46:47], v[10:11]
	v_fma_f64 v[44:45], v[48:49], v[10:11], -v[6:7]
	ds_read_b128 v[6:9], v39
	ds_read_b128 v[10:13], v0 offset:768
	s_waitcnt vmcnt(3) lgkmcnt(4)
	v_mul_f64 v[46:47], v[52:53], v[16:17]
	v_mul_f64 v[16:17], v[50:51], v[16:17]
	s_waitcnt vmcnt(2) lgkmcnt(3)
	v_mul_f64 v[48:49], v[56:57], v[20:21]
	v_fmac_f64_e32 v[46:47], v[50:51], v[14:15]
	v_fma_f64 v[14:15], v[52:53], v[14:15], -v[16:17]
	v_mul_f64 v[16:17], v[54:55], v[20:21]
	s_waitcnt vmcnt(1) lgkmcnt(2)
	v_mul_f64 v[20:21], v[60:61], v[26:27]
	s_waitcnt vmcnt(0) lgkmcnt(0)
	v_mul_f64 v[50:51], v[12:13], v[30:31]
	v_mul_f64 v[26:27], v[58:59], v[26:27]
	v_fmac_f64_e32 v[48:49], v[54:55], v[18:19]
	v_fma_f64 v[16:17], v[56:57], v[18:19], -v[16:17]
	v_mul_f64 v[18:19], v[10:11], v[30:31]
	v_fmac_f64_e32 v[20:21], v[58:59], v[24:25]
	v_fmac_f64_e32 v[50:51], v[10:11], v[28:29]
	v_fma_f64 v[24:25], v[60:61], v[24:25], -v[26:27]
	v_fma_f64 v[10:11], v[12:13], v[28:29], -v[18:19]
	v_add_f64 v[12:13], v[22:23], v[50:51]
	v_add_f64 v[26:27], v[32:33], v[20:21]
	;; [unrolled: 1-line block ×4, first 2 shown]
	v_add_f64 v[20:21], v[32:33], -v[20:21]
	v_add_f64 v[24:25], v[44:45], -v[24:25]
	v_add_f64 v[30:31], v[46:47], v[48:49]
	v_add_f64 v[32:33], v[14:15], v[16:17]
	v_add_f64 v[14:15], v[16:17], -v[14:15]
	v_add_f64 v[16:17], v[26:27], v[12:13]
	v_add_f64 v[10:11], v[42:43], -v[10:11]
	v_add_f64 v[44:45], v[28:29], v[18:19]
	v_add_f64 v[52:53], v[14:15], v[24:25]
	;; [unrolled: 1-line block ×3, first 2 shown]
	v_add_f64 v[42:43], v[48:49], -v[46:47]
	v_add_f64 v[46:47], v[26:27], -v[12:13]
	;; [unrolled: 1-line block ×10, first 2 shown]
	v_add_f64 v[30:31], v[32:33], v[44:45]
	v_add_f64 v[32:33], v[52:53], v[10:11]
	v_add_f64 v[10:11], v[6:7], v[16:17]
	v_mul_f64 v[44:45], v[12:13], s[10:11]
	v_add_f64 v[12:13], v[8:9], v[30:31]
	v_mov_b64_e32 v[58:59], v[10:11]
	v_add_f64 v[22:23], v[22:23], -v[50:51]
	v_add_f64 v[50:51], v[42:43], v[20:21]
	v_mul_f64 v[18:19], v[18:19], s[10:11]
	s_mov_b32 s10, 0xe976ee23
	v_fmac_f64_e32 v[58:59], s[12:13], v[16:17]
	v_mov_b64_e32 v[16:17], v[12:13]
	v_add_f64 v[54:55], v[42:43], -v[20:21]
	v_add_f64 v[42:43], v[22:23], -v[42:43]
	;; [unrolled: 1-line block ×3, first 2 shown]
	v_add_f64 v[22:23], v[50:51], v[22:23]
	v_mul_f64 v[50:51], v[26:27], s[2:3]
	v_mul_f64 v[6:7], v[28:29], s[2:3]
	s_mov_b32 s11, 0x3fe11646
	v_fmac_f64_e32 v[16:17], s[12:13], v[30:31]
	s_mov_b32 s13, 0x3fe77f67
	s_mov_b32 s12, 0x5476071b
	v_mul_f64 v[8:9], v[54:55], s[10:11]
	v_mul_f64 v[52:53], v[56:57], s[10:11]
	s_mov_b32 s10, 0x429ad128
	v_fma_f64 v[30:31], v[46:47], s[12:13], -v[50:51]
	v_fma_f64 v[6:7], v[48:49], s[12:13], -v[6:7]
	s_mov_b32 s13, 0xbfe77f67
	s_mov_b32 s11, 0xbfebfeb5
	v_fma_f64 v[26:27], s[2:3], v[26:27], v[44:45]
	v_fma_f64 v[44:45], v[46:47], s[12:13], -v[44:45]
	v_fma_f64 v[46:47], v[48:49], s[12:13], -v[18:19]
	v_fmac_f64_e32 v[18:19], s[2:3], v[28:29]
	s_mov_b32 s3, 0xbfd5d0dc
	s_mov_b32 s2, 0xb247c609
	v_mul_f64 v[54:55], v[20:21], s[10:11]
	v_mul_f64 v[56:57], v[24:25], s[10:11]
	v_fma_f64 v[48:49], s[2:3], v[42:43], v[8:9]
	v_fma_f64 v[28:29], v[24:25], s[10:11], -v[52:53]
	v_fmac_f64_e32 v[52:53], s[2:3], v[14:15]
	s_mov_b32 s3, 0x3fd5d0dc
	v_fma_f64 v[42:43], v[42:43], s[2:3], -v[54:55]
	v_fma_f64 v[50:51], v[14:15], s[2:3], -v[56:57]
	s_mov_b32 s2, 0x37c3f68c
	s_mov_b32 s3, 0xbfdc38aa
	v_add_f64 v[54:55], v[26:27], v[58:59]
	v_add_f64 v[26:27], v[30:31], v[58:59]
	;; [unrolled: 1-line block ×4, first 2 shown]
	v_fmac_f64_e32 v[42:43], s[2:3], v[22:23]
	v_fma_f64 v[8:9], v[20:21], s[10:11], -v[8:9]
	v_fmac_f64_e32 v[52:53], s[2:3], v[32:33]
	v_fmac_f64_e32 v[28:29], s[2:3], v[32:33]
	;; [unrolled: 1-line block ×3, first 2 shown]
	v_add_f64 v[20:21], v[44:45], -v[42:43]
	v_add_f64 v[32:33], v[42:43], v[44:45]
	v_lshrrev_b32_e32 v42, 2, v34
	v_mul_u32_u24_e32 v42, 28, v42
	v_add_f64 v[56:57], v[18:19], v[16:17]
	v_add_f64 v[6:7], v[6:7], v[16:17]
	v_fmac_f64_e32 v[48:49], s[2:3], v[22:23]
	v_fmac_f64_e32 v[8:9], s[2:3], v[22:23]
	v_or_b32_e32 v35, v42, v35
	v_add_f64 v[14:15], v[52:53], v[54:55]
	v_add_f64 v[16:17], v[56:57], -v[48:49]
	v_add_f64 v[18:19], v[50:51], v[30:31]
	v_add_f64 v[22:23], v[26:27], -v[28:29]
	v_add_f64 v[24:25], v[8:9], v[6:7]
	v_add_f64 v[26:27], v[28:29], v[26:27]
	v_add_f64 v[28:29], v[6:7], -v[8:9]
	v_add_f64 v[30:31], v[30:31], -v[50:51]
	v_lshl_add_u32 v35, v35, 4, v37
	v_add_f64 v[6:7], v[54:55], -v[52:53]
	v_add_f64 v[8:9], v[48:49], v[56:57]
	s_barrier
	ds_write_b128 v35, v[10:13]
	ds_write_b128 v35, v[14:17] offset:64
	ds_write_b128 v35, v[18:21] offset:128
	;; [unrolled: 1-line block ×6, first 2 shown]
	s_waitcnt lgkmcnt(0)
	s_barrier
	ds_read_b128 v[14:17], v39
	ds_read_b128 v[10:13], v62
	ds_read_b128 v[26:29], v0 offset:448
	ds_read_b128 v[18:21], v0 offset:256
	;; [unrolled: 1-line block ×4, first 2 shown]
	v_cmp_gt_u32_e64 s[2:3], 4, v34
	s_and_saveexec_b64 s[10:11], s[2:3]
	s_cbranch_execz .LBB0_12
; %bb.11:
	ds_read_b128 v[6:9], v0 offset:384
	ds_read_b128 v[2:5], v0 offset:832
.LBB0_12:
	s_or_b64 exec, exec, s[10:11]
	s_and_saveexec_b64 s[2:3], vcc
	s_cbranch_execz .LBB0_15
; %bb.13:
	v_mov_b32_e32 v35, 0
	v_lshl_add_u64 v[50:51], v[34:35], 4, s[8:9]
	v_mov_b32_e32 v39, v35
	global_load_dwordx4 v[42:45], v[50:51], off offset:640
	global_load_dwordx4 v[46:49], v[50:51], off offset:384
	v_lshl_add_u64 v[38:39], v[38:39], 4, s[8:9]
	global_load_dwordx4 v[50:53], v[38:39], off offset:384
	v_mad_u64_u32 v[54:55], s[2:3], s6, v36, 0
	s_load_dwordx2 s[0:1], s[0:1], 0x58
	v_mul_lo_u32 v37, s5, v1
	v_mul_lo_u32 v41, s4, v41
	v_mad_u64_u32 v[38:39], s[2:3], s4, v1, 0
	v_add_u32_e32 v58, 8, v40
	v_mov_b32_e32 v56, v55
	v_mov_b32_e32 v57, v35
	s_mov_b32 s4, 0x24924925
	v_add_u32_e32 v60, 16, v40
	v_add3_u32 v39, v39, v41, v37
	v_lshrrev_b32_e32 v41, 2, v58
	v_mad_u64_u32 v[36:37], s[2:3], s7, v36, v[56:57]
	v_lshrrev_b32_e32 v55, 2, v60
	v_mul_hi_u32 v37, v41, s4
	v_lshrrev_b32_e32 v1, 2, v40
	v_mul_hi_u32 v41, v55, s4
	v_mov_b32_e32 v55, v36
	v_mul_lo_u32 v36, v37, 28
	v_mul_hi_u32 v1, v1, s4
	v_mul_lo_u32 v62, v41, 28
	v_sub_u32_e32 v36, v58, v36
	v_mov_b32_e32 v59, v35
	v_mul_lo_u32 v1, v1, 28
	v_sub_u32_e32 v58, v60, v62
	s_waitcnt lgkmcnt(0)
	v_lshl_add_u64 v[54:55], v[54:55], 4, s[0:1]
	v_mad_u64_u32 v[62:63], s[0:1], v37, 56, v[36:37]
	v_sub_u32_e32 v1, v40, v1
	v_mad_u64_u32 v[64:65], s[0:1], v41, 56, v[58:59]
	v_lshl_add_u64 v[36:37], v[38:39], 4, v[54:55]
	v_mov_b32_e32 v63, v35
	v_lshlrev_b32_e32 v56, 4, v1
	v_add_u32_e32 v58, 28, v62
	v_mov_b32_e32 v65, v35
	v_lshl_add_u64 v[54:55], v[62:63], 4, v[36:37]
	v_add_u32_e32 v60, 28, v64
	v_lshl_add_u64 v[38:39], v[36:37], 0, v[56:57]
	v_lshl_add_u64 v[56:57], v[58:59], 4, v[36:37]
	;; [unrolled: 1-line block ×3, first 2 shown]
	v_add_u32_e32 v0, 24, v40
	v_mov_b32_e32 v61, v35
	v_cmp_gt_u32_e32 vcc, 28, v0
	v_lshl_add_u64 v[60:61], v[60:61], 4, v[36:37]
	s_waitcnt vmcnt(2)
	v_mul_f64 v[62:63], v[30:31], v[44:45]
	v_mul_f64 v[44:45], v[32:33], v[44:45]
	s_waitcnt vmcnt(1)
	v_mul_f64 v[64:65], v[26:27], v[48:49]
	v_fmac_f64_e32 v[44:45], v[30:31], v[42:43]
	v_mul_f64 v[30:31], v[28:29], v[48:49]
	v_fma_f64 v[32:33], v[32:33], v[42:43], -v[62:63]
	s_waitcnt vmcnt(0)
	v_mul_f64 v[42:43], v[22:23], v[52:53]
	v_mul_f64 v[48:49], v[24:25], v[52:53]
	v_fma_f64 v[52:53], v[28:29], v[46:47], -v[64:65]
	v_fmac_f64_e32 v[30:31], v[26:27], v[46:47]
	v_add_f64 v[28:29], v[20:21], -v[32:33]
	v_fma_f64 v[32:33], v[24:25], v[50:51], -v[42:43]
	v_fmac_f64_e32 v[48:49], v[22:23], v[50:51]
	v_add_f64 v[24:25], v[16:17], -v[52:53]
	v_add_f64 v[22:23], v[14:15], -v[30:31]
	;; [unrolled: 1-line block ×5, first 2 shown]
	v_fma_f64 v[16:17], v[16:17], 2.0, -v[24:25]
	v_fma_f64 v[14:15], v[14:15], 2.0, -v[22:23]
	;; [unrolled: 1-line block ×4, first 2 shown]
	global_store_dwordx4 v[38:39], v[22:25], off offset:448
	v_fma_f64 v[12:13], v[12:13], 2.0, -v[32:33]
	v_fma_f64 v[10:11], v[10:11], 2.0, -v[30:31]
	global_store_dwordx4 v[38:39], v[14:17], off
	global_store_dwordx4 v[56:57], v[30:33], off
	;; [unrolled: 1-line block ×5, first 2 shown]
	s_and_b64 exec, exec, vcc
	s_cbranch_execz .LBB0_15
; %bb.14:
	v_or_b32_e32 v1, 24, v34
	v_add_u32_e32 v10, -4, v34
	v_cmp_gt_u32_e32 vcc, 28, v1
	s_nop 1
	v_cndmask_b32_e32 v34, v10, v1, vcc
	v_lshl_add_u64 v[10:11], v[34:35], 4, s[8:9]
	global_load_dwordx4 v[10:13], v[10:11], off offset:384
	v_mov_b32_e32 v1, v35
	v_lshl_add_u64 v[14:15], v[0:1], 4, v[36:37]
	v_add_u32_e32 v34, 52, v40
	v_lshl_add_u64 v[16:17], v[34:35], 4, v[36:37]
	s_waitcnt vmcnt(0)
	v_mul_f64 v[0:1], v[4:5], v[12:13]
	v_mul_f64 v[12:13], v[2:3], v[12:13]
	v_fmac_f64_e32 v[0:1], v[2:3], v[10:11]
	v_fma_f64 v[2:3], v[4:5], v[10:11], -v[12:13]
	v_add_f64 v[0:1], v[6:7], -v[0:1]
	v_add_f64 v[2:3], v[8:9], -v[2:3]
	v_fma_f64 v[4:5], v[6:7], 2.0, -v[0:1]
	v_fma_f64 v[6:7], v[8:9], 2.0, -v[2:3]
	global_store_dwordx4 v[14:15], v[4:7], off
	global_store_dwordx4 v[16:17], v[0:3], off
.LBB0_15:
	s_endpgm
	.section	.rodata,"a",@progbits
	.p2align	6, 0x0
	.amdhsa_kernel fft_rtc_back_len56_factors_4_7_2_wgs_128_tpt_8_dim2_dp_op_CI_CI_unitstride_sbrr_dirReg
		.amdhsa_group_segment_fixed_size 0
		.amdhsa_private_segment_fixed_size 0
		.amdhsa_kernarg_size 96
		.amdhsa_user_sgpr_count 2
		.amdhsa_user_sgpr_dispatch_ptr 0
		.amdhsa_user_sgpr_queue_ptr 0
		.amdhsa_user_sgpr_kernarg_segment_ptr 1
		.amdhsa_user_sgpr_dispatch_id 0
		.amdhsa_user_sgpr_kernarg_preload_length 0
		.amdhsa_user_sgpr_kernarg_preload_offset 0
		.amdhsa_user_sgpr_private_segment_size 0
		.amdhsa_uses_dynamic_stack 0
		.amdhsa_enable_private_segment 0
		.amdhsa_system_sgpr_workgroup_id_x 1
		.amdhsa_system_sgpr_workgroup_id_y 0
		.amdhsa_system_sgpr_workgroup_id_z 0
		.amdhsa_system_sgpr_workgroup_info 0
		.amdhsa_system_vgpr_workitem_id 0
		.amdhsa_next_free_vgpr 66
		.amdhsa_next_free_sgpr 18
		.amdhsa_accum_offset 68
		.amdhsa_reserve_vcc 1
		.amdhsa_float_round_mode_32 0
		.amdhsa_float_round_mode_16_64 0
		.amdhsa_float_denorm_mode_32 3
		.amdhsa_float_denorm_mode_16_64 3
		.amdhsa_dx10_clamp 1
		.amdhsa_ieee_mode 1
		.amdhsa_fp16_overflow 0
		.amdhsa_tg_split 0
		.amdhsa_exception_fp_ieee_invalid_op 0
		.amdhsa_exception_fp_denorm_src 0
		.amdhsa_exception_fp_ieee_div_zero 0
		.amdhsa_exception_fp_ieee_overflow 0
		.amdhsa_exception_fp_ieee_underflow 0
		.amdhsa_exception_fp_ieee_inexact 0
		.amdhsa_exception_int_div_zero 0
	.end_amdhsa_kernel
	.text
.Lfunc_end0:
	.size	fft_rtc_back_len56_factors_4_7_2_wgs_128_tpt_8_dim2_dp_op_CI_CI_unitstride_sbrr_dirReg, .Lfunc_end0-fft_rtc_back_len56_factors_4_7_2_wgs_128_tpt_8_dim2_dp_op_CI_CI_unitstride_sbrr_dirReg
                                        ; -- End function
	.section	.AMDGPU.csdata,"",@progbits
; Kernel info:
; codeLenInByte = 2880
; NumSgprs: 24
; NumVgprs: 66
; NumAgprs: 0
; TotalNumVgprs: 66
; ScratchSize: 0
; MemoryBound: 1
; FloatMode: 240
; IeeeMode: 1
; LDSByteSize: 0 bytes/workgroup (compile time only)
; SGPRBlocks: 2
; VGPRBlocks: 8
; NumSGPRsForWavesPerEU: 24
; NumVGPRsForWavesPerEU: 66
; AccumOffset: 68
; Occupancy: 7
; WaveLimiterHint : 1
; COMPUTE_PGM_RSRC2:SCRATCH_EN: 0
; COMPUTE_PGM_RSRC2:USER_SGPR: 2
; COMPUTE_PGM_RSRC2:TRAP_HANDLER: 0
; COMPUTE_PGM_RSRC2:TGID_X_EN: 1
; COMPUTE_PGM_RSRC2:TGID_Y_EN: 0
; COMPUTE_PGM_RSRC2:TGID_Z_EN: 0
; COMPUTE_PGM_RSRC2:TIDIG_COMP_CNT: 0
; COMPUTE_PGM_RSRC3_GFX90A:ACCUM_OFFSET: 16
; COMPUTE_PGM_RSRC3_GFX90A:TG_SPLIT: 0
	.text
	.p2alignl 6, 3212836864
	.fill 256, 4, 3212836864
	.type	__hip_cuid_d3c50fd86a756eb8,@object ; @__hip_cuid_d3c50fd86a756eb8
	.section	.bss,"aw",@nobits
	.globl	__hip_cuid_d3c50fd86a756eb8
__hip_cuid_d3c50fd86a756eb8:
	.byte	0                               ; 0x0
	.size	__hip_cuid_d3c50fd86a756eb8, 1

	.ident	"AMD clang version 19.0.0git (https://github.com/RadeonOpenCompute/llvm-project roc-6.4.0 25133 c7fe45cf4b819c5991fe208aaa96edf142730f1d)"
	.section	".note.GNU-stack","",@progbits
	.addrsig
	.addrsig_sym __hip_cuid_d3c50fd86a756eb8
	.amdgpu_metadata
---
amdhsa.kernels:
  - .agpr_count:     0
    .args:
      - .actual_access:  read_only
        .address_space:  global
        .offset:         0
        .size:           8
        .value_kind:     global_buffer
      - .actual_access:  read_only
        .address_space:  global
        .offset:         8
        .size:           8
        .value_kind:     global_buffer
      - .actual_access:  read_only
        .address_space:  global
        .offset:         16
        .size:           8
        .value_kind:     global_buffer
      - .actual_access:  read_only
        .address_space:  global
        .offset:         24
        .size:           8
        .value_kind:     global_buffer
      - .offset:         32
        .size:           8
        .value_kind:     by_value
      - .actual_access:  read_only
        .address_space:  global
        .offset:         40
        .size:           8
        .value_kind:     global_buffer
      - .actual_access:  read_only
        .address_space:  global
        .offset:         48
        .size:           8
        .value_kind:     global_buffer
      - .offset:         56
        .size:           4
        .value_kind:     by_value
      - .actual_access:  read_only
        .address_space:  global
        .offset:         64
        .size:           8
        .value_kind:     global_buffer
      - .actual_access:  read_only
        .address_space:  global
        .offset:         72
        .size:           8
        .value_kind:     global_buffer
      - .actual_access:  read_only
        .address_space:  global
        .offset:         80
        .size:           8
        .value_kind:     global_buffer
      - .actual_access:  write_only
        .address_space:  global
        .offset:         88
        .size:           8
        .value_kind:     global_buffer
    .group_segment_fixed_size: 0
    .kernarg_segment_align: 8
    .kernarg_segment_size: 96
    .language:       OpenCL C
    .language_version:
      - 2
      - 0
    .max_flat_workgroup_size: 128
    .name:           fft_rtc_back_len56_factors_4_7_2_wgs_128_tpt_8_dim2_dp_op_CI_CI_unitstride_sbrr_dirReg
    .private_segment_fixed_size: 0
    .sgpr_count:     24
    .sgpr_spill_count: 0
    .symbol:         fft_rtc_back_len56_factors_4_7_2_wgs_128_tpt_8_dim2_dp_op_CI_CI_unitstride_sbrr_dirReg.kd
    .uniform_work_group_size: 1
    .uses_dynamic_stack: false
    .vgpr_count:     66
    .vgpr_spill_count: 0
    .wavefront_size: 64
amdhsa.target:   amdgcn-amd-amdhsa--gfx950
amdhsa.version:
  - 1
  - 2
...

	.end_amdgpu_metadata
